;; amdgpu-corpus repo=ROCm/rocFFT kind=compiled arch=gfx906 opt=O3
	.text
	.amdgcn_target "amdgcn-amd-amdhsa--gfx906"
	.amdhsa_code_object_version 6
	.protected	bluestein_single_back_len55_dim1_dp_op_CI_CI ; -- Begin function bluestein_single_back_len55_dim1_dp_op_CI_CI
	.globl	bluestein_single_back_len55_dim1_dp_op_CI_CI
	.p2align	8
	.type	bluestein_single_back_len55_dim1_dp_op_CI_CI,@function
bluestein_single_back_len55_dim1_dp_op_CI_CI: ; @bluestein_single_back_len55_dim1_dp_op_CI_CI
; %bb.0:
	v_mul_u32_u24_e32 v1, 0x1746, v0
	s_mov_b64 s[38:39], s[2:3]
	s_load_dwordx4 s[12:15], s[4:5], 0x28
	v_lshrrev_b32_e32 v1, 16, v1
	s_mov_b64 s[36:37], s[0:1]
	v_mad_u64_u32 v[104:105], s[0:1], s6, 23, v[1:2]
	v_mov_b32_e32 v105, 0
	s_add_u32 s36, s36, s7
	s_waitcnt lgkmcnt(0)
	v_cmp_gt_u64_e32 vcc, s[12:13], v[104:105]
	s_addc_u32 s37, s37, 0
	s_and_saveexec_b64 s[0:1], vcc
	s_cbranch_execz .LBB0_10
; %bb.1:
	s_load_dwordx4 s[0:3], s[4:5], 0x18
	s_load_dwordx4 s[8:11], s[4:5], 0x0
	v_mul_lo_u16_e32 v1, 11, v1
	v_sub_u16_e32 v235, v0, v1
	v_lshlrev_b32_e32 v238, 4, v235
	s_waitcnt lgkmcnt(0)
	s_load_dwordx4 s[16:19], s[0:1], 0x0
	v_mov_b32_e32 v60, s9
	s_mov_b32 s6, 0x4755a5e
	s_mov_b32 s7, 0x3fe2cf23
	;; [unrolled: 1-line block ×3, first 2 shown]
	s_waitcnt lgkmcnt(0)
	v_mad_u64_u32 v[0:1], s[0:1], s18, v104, 0
	v_mad_u64_u32 v[2:3], s[0:1], s16, v235, 0
	s_mov_b32 s13, 0x3fd3c6ef
	s_load_dwordx2 s[4:5], s[4:5], 0x38
	v_mad_u64_u32 v[4:5], s[0:1], s19, v104, v[1:2]
	s_mov_b32 s19, 0xbfee6f0e
                                        ; implicit-def: $vgpr80_vgpr81
                                        ; implicit-def: $vgpr84_vgpr85
                                        ; implicit-def: $vgpr88_vgpr89
                                        ; implicit-def: $vgpr92_vgpr93
                                        ; implicit-def: $vgpr96_vgpr97
                                        ; implicit-def: $vgpr100_vgpr101
	v_mad_u64_u32 v[5:6], s[0:1], s17, v235, v[3:4]
	v_mov_b32_e32 v1, v4
	v_lshlrev_b64 v[0:1], 4, v[0:1]
	v_mov_b32_e32 v6, s15
	v_mov_b32_e32 v3, v5
	v_add_co_u32_e32 v4, vcc, s14, v0
	v_addc_co_u32_e32 v5, vcc, v6, v1, vcc
	v_lshlrev_b64 v[0:1], 4, v[2:3]
	s_mul_i32 s0, s17, 0xb0
	v_add_co_u32_e32 v0, vcc, v4, v0
	s_mul_hi_u32 s1, s16, 0xb0
	v_addc_co_u32_e32 v1, vcc, v5, v1, vcc
	s_add_i32 s0, s1, s0
	s_mul_i32 s1, s16, 0xb0
	global_load_dwordx4 v[20:23], v[0:1], off
	v_mov_b32_e32 v2, s0
	v_add_co_u32_e32 v0, vcc, s1, v0
	v_addc_co_u32_e32 v1, vcc, v1, v2, vcc
	v_mov_b32_e32 v3, s0
	v_add_co_u32_e32 v2, vcc, s1, v0
	v_addc_co_u32_e32 v3, vcc, v1, v3, vcc
	global_load_dwordx4 v[16:19], v238, s[8:9]
	global_load_dwordx4 v[8:11], v238, s[8:9] offset:176
	global_load_dwordx4 v[24:27], v[0:1], off
	global_load_dwordx4 v[28:31], v[2:3], off
	v_mov_b32_e32 v0, s0
	v_add_co_u32_e32 v40, vcc, s1, v2
	v_addc_co_u32_e32 v41, vcc, v3, v0, vcc
	global_load_dwordx4 v[12:15], v238, s[8:9] offset:352
	global_load_dwordx4 v[0:3], v238, s[8:9] offset:528
	v_mov_b32_e32 v4, s0
	v_add_co_u32_e32 v42, vcc, s1, v40
	v_addc_co_u32_e32 v43, vcc, v41, v4, vcc
	global_load_dwordx4 v[32:35], v[40:41], off
	global_load_dwordx4 v[4:7], v238, s[8:9] offset:704
	global_load_dwordx4 v[36:39], v[42:43], off
	s_mov_b32 s0, 0xb21642c9
	v_mul_hi_u32 v40, v104, s0
	s_load_dwordx4 s[0:3], s[2:3], 0x0
	v_add_co_u32_e32 v105, vcc, s8, v238
	v_lshrrev_b32_e32 v40, 4, v40
	v_mul_lo_u32 v40, v40, 23
	v_addc_co_u32_e32 v106, vcc, 0, v60, vcc
	s_mov_b32 s14, 0x134454ff
	v_sub_u32_e32 v61, v104, v40
	s_mov_b32 s15, 0x3fee6f0e
	s_mov_b32 s18, s14
	;; [unrolled: 1-line block ×4, first 2 shown]
	v_cmp_gt_u16_e32 vcc, 5, v235
	s_waitcnt vmcnt(8)
	v_mul_f64 v[40:41], v[22:23], v[18:19]
	v_mul_f64 v[42:43], v[20:21], v[18:19]
	s_waitcnt vmcnt(6)
	v_mul_f64 v[44:45], v[26:27], v[10:11]
	v_mul_f64 v[46:47], v[24:25], v[10:11]
	;; [unrolled: 3-line block ×3, first 2 shown]
	v_fma_f64 v[20:21], v[20:21], v[16:17], v[40:41]
	v_fma_f64 v[22:23], v[22:23], v[16:17], -v[42:43]
	v_fma_f64 v[24:25], v[24:25], v[8:9], v[44:45]
	s_waitcnt vmcnt(2)
	v_mul_f64 v[52:53], v[34:35], v[2:3]
	v_mul_f64 v[54:55], v[32:33], v[2:3]
	s_waitcnt vmcnt(0)
	v_mul_f64 v[56:57], v[38:39], v[6:7]
	v_mul_f64 v[58:59], v[36:37], v[6:7]
	v_fma_f64 v[26:27], v[26:27], v[8:9], -v[46:47]
	v_fma_f64 v[28:29], v[28:29], v[12:13], v[48:49]
	v_fma_f64 v[30:31], v[30:31], v[12:13], -v[50:51]
	v_mul_u32_u24_e32 v40, 55, v61
	v_fma_f64 v[32:33], v[32:33], v[0:1], v[52:53]
	v_fma_f64 v[34:35], v[34:35], v[0:1], -v[54:55]
	v_fma_f64 v[36:37], v[36:37], v[4:5], v[56:57]
	v_fma_f64 v[38:39], v[38:39], v[4:5], -v[58:59]
	v_lshlrev_b32_e32 v237, 4, v40
	v_add_u32_e32 v236, v238, v237
	ds_write_b128 v236, v[20:23]
	ds_write_b128 v236, v[24:27] offset:176
	ds_write_b128 v236, v[28:31] offset:352
	;; [unrolled: 1-line block ×4, first 2 shown]
	s_waitcnt lgkmcnt(0)
	s_barrier
	ds_read_b128 v[20:23], v236
	ds_read_b128 v[24:27], v236 offset:176
	ds_read_b128 v[28:31], v236 offset:352
	;; [unrolled: 1-line block ×4, first 2 shown]
	s_waitcnt lgkmcnt(0)
	v_add_f64 v[40:41], v[20:21], v[24:25]
	v_add_f64 v[48:49], v[24:25], -v[28:29]
	v_add_f64 v[42:43], v[28:29], v[32:33]
	v_add_f64 v[50:51], v[36:37], -v[32:33]
	v_add_f64 v[52:53], v[24:25], v[36:37]
	v_add_f64 v[60:61], v[30:31], v[34:35]
	;; [unrolled: 1-line block ×3, first 2 shown]
	v_add_f64 v[44:45], v[26:27], -v[38:39]
	v_add_f64 v[46:47], v[30:31], -v[34:35]
	;; [unrolled: 1-line block ×4, first 2 shown]
	v_add_f64 v[58:59], v[22:23], v[26:27]
	v_add_f64 v[24:25], v[24:25], -v[36:37]
	v_add_f64 v[62:63], v[28:29], -v[32:33]
	v_fma_f64 v[42:43], v[42:43], -0.5, v[20:21]
	v_add_f64 v[28:29], v[40:41], v[28:29]
	v_add_f64 v[40:41], v[48:49], v[50:51]
	v_fma_f64 v[20:21], v[52:53], -0.5, v[20:21]
	v_fma_f64 v[50:51], v[60:61], -0.5, v[22:23]
	;; [unrolled: 1-line block ×3, first 2 shown]
	v_add_f64 v[66:67], v[26:27], -v[30:31]
	v_add_f64 v[68:69], v[38:39], -v[34:35]
	;; [unrolled: 1-line block ×4, first 2 shown]
	v_add_f64 v[48:49], v[54:55], v[56:57]
	v_fma_f64 v[52:53], v[44:45], s[14:15], v[42:43]
	v_add_f64 v[30:31], v[58:59], v[30:31]
	v_add_f64 v[28:29], v[28:29], v[32:33]
	v_fma_f64 v[32:33], v[44:45], s[18:19], v[42:43]
	v_fma_f64 v[42:43], v[46:47], s[18:19], v[20:21]
	;; [unrolled: 1-line block ×8, first 2 shown]
	v_add_f64 v[60:61], v[28:29], v[36:37]
	v_fma_f64 v[28:29], v[46:47], s[16:17], v[32:33]
	v_fma_f64 v[32:33], v[44:45], s[6:7], v[42:43]
	;; [unrolled: 1-line block ×3, first 2 shown]
	v_add_f64 v[30:31], v[30:31], v[34:35]
	v_fma_f64 v[34:35], v[62:63], s[16:17], v[54:55]
	v_add_f64 v[36:37], v[66:67], v[68:69]
	v_fma_f64 v[42:43], v[62:63], s[6:7], v[50:51]
	v_fma_f64 v[44:45], v[24:25], s[16:17], v[56:57]
	v_add_f64 v[26:27], v[26:27], v[70:71]
	v_fma_f64 v[22:23], v[24:25], s[6:7], v[22:23]
	v_fma_f64 v[64:65], v[40:41], s[12:13], v[52:53]
	;; [unrolled: 1-line block ×5, first 2 shown]
	v_add_f64 v[62:63], v[30:31], v[38:39]
	v_fma_f64 v[66:67], v[36:37], s[12:13], v[34:35]
	v_fma_f64 v[78:79], v[36:37], s[12:13], v[42:43]
	;; [unrolled: 1-line block ×4, first 2 shown]
	v_mul_lo_u16_e32 v20, 5, v235
	v_lshl_add_u32 v239, v20, 4, v237
	s_barrier
	ds_write_b128 v239, v[60:63]
	ds_write_b128 v239, v[64:67] offset:16
	ds_write_b128 v239, v[68:71] offset:32
	;; [unrolled: 1-line block ×4, first 2 shown]
	s_waitcnt lgkmcnt(0)
	s_barrier
	s_and_saveexec_b64 s[6:7], vcc
	s_cbranch_execz .LBB0_3
; %bb.2:
	ds_read_b128 v[60:63], v236
	ds_read_b128 v[64:67], v236 offset:80
	ds_read_b128 v[68:71], v236 offset:160
	;; [unrolled: 1-line block ×10, first 2 shown]
.LBB0_3:
	s_or_b64 exec, exec, s[6:7]
	s_movk_i32 s6, 0xcd
	v_mul_lo_u16_sdwa v20, v235, s6 dst_sel:DWORD dst_unused:UNUSED_PAD src0_sel:BYTE_0 src1_sel:DWORD
	v_lshrrev_b16_e32 v20, 10, v20
	v_mul_lo_u16_e32 v20, 5, v20
	v_sub_u16_e32 v20, v235, v20
	v_mul_lo_u16_e32 v20, 10, v20
	v_and_b32_e32 v20, 0xfe, v20
	v_lshlrev_b32_e32 v107, 4, v20
	global_load_dwordx4 v[24:27], v107, s[10:11]
	global_load_dwordx4 v[20:23], v107, s[10:11] offset:16
	global_load_dwordx4 v[28:31], v107, s[10:11] offset:32
	;; [unrolled: 1-line block ×9, first 2 shown]
	s_mov_b32 s14, 0xf8bb580b
	s_mov_b32 s15, 0xbfe14ced
	;; [unrolled: 1-line block ×26, first 2 shown]
	s_waitcnt vmcnt(9) lgkmcnt(9)
	v_mul_f64 v[109:110], v[64:65], v[26:27]
	v_mul_f64 v[107:108], v[66:67], v[26:27]
	s_waitcnt vmcnt(8) lgkmcnt(8)
	v_mul_f64 v[113:114], v[68:69], v[22:23]
	v_mul_f64 v[111:112], v[70:71], v[22:23]
	s_waitcnt vmcnt(7) lgkmcnt(7)
	v_mul_f64 v[115:116], v[74:75], v[30:31]
	s_waitcnt vmcnt(6) lgkmcnt(6)
	;; [unrolled: 2-line block ×3, first 2 shown]
	v_mul_f64 v[135:136], v[82:83], v[54:55]
	v_mul_f64 v[117:118], v[72:73], v[30:31]
	s_waitcnt vmcnt(1) lgkmcnt(0)
	v_mul_f64 v[123:124], v[100:101], v[46:47]
	v_fma_f64 v[137:138], v[66:67], v[24:25], v[109:110]
	v_mul_f64 v[66:67], v[102:103], v[46:47]
	v_fma_f64 v[133:134], v[64:65], v[24:25], -v[107:108]
	s_waitcnt vmcnt(0)
	v_mul_f64 v[64:65], v[96:97], v[42:43]
	v_fma_f64 v[131:132], v[70:71], v[20:21], v[113:114]
	v_mul_f64 v[70:71], v[98:99], v[42:43]
	v_mul_f64 v[139:140], v[80:81], v[54:55]
	v_fma_f64 v[173:174], v[102:103], v[44:45], v[123:124]
	v_mul_f64 v[145:146], v[90:91], v[38:39]
	v_fma_f64 v[159:160], v[100:101], v[44:45], -v[66:67]
	v_fma_f64 v[129:130], v[68:69], v[20:21], -v[111:112]
	v_mul_f64 v[68:69], v[92:93], v[58:59]
	v_fma_f64 v[125:126], v[72:73], v[28:29], -v[115:116]
	v_fma_f64 v[100:101], v[98:99], v[40:41], v[64:65]
	v_fma_f64 v[115:116], v[78:79], v[32:33], v[121:122]
	v_add_f64 v[169:170], v[137:138], -v[173:174]
	v_fma_f64 v[155:156], v[80:81], v[52:53], -v[135:136]
	v_fma_f64 v[121:122], v[96:97], v[40:41], -v[70:71]
	v_add_f64 v[80:81], v[133:134], -v[159:160]
	v_mul_f64 v[119:120], v[78:79], v[34:35]
	v_mul_f64 v[141:142], v[86:87], v[50:51]
	;; [unrolled: 1-line block ×4, first 2 shown]
	v_fma_f64 v[127:128], v[74:75], v[28:29], v[117:118]
	v_fma_f64 v[111:112], v[82:83], v[52:53], v[139:140]
	v_add_f64 v[147:148], v[133:134], v[159:160]
	v_add_f64 v[171:172], v[131:132], -v[100:101]
	v_mul_f64 v[96:97], v[169:170], s[14:15]
	v_fma_f64 v[135:136], v[88:89], v[36:37], -v[145:146]
	v_add_f64 v[151:152], v[137:138], v[173:174]
	v_add_f64 v[82:83], v[129:130], -v[121:122]
	v_mul_f64 v[88:89], v[80:81], s[14:15]
	v_fma_f64 v[185:186], v[94:95], v[56:57], v[68:69]
	v_mul_f64 v[143:144], v[84:85], v[50:51]
	v_fma_f64 v[109:110], v[76:77], v[32:33], -v[119:120]
	v_fma_f64 v[139:140], v[84:85], v[48:49], -v[141:142]
	v_add_f64 v[145:146], v[129:130], v[121:122]
	v_mul_f64 v[119:120], v[171:172], s[12:13]
	v_fma_f64 v[64:65], v[147:148], s[6:7], v[96:97]
	v_fma_f64 v[107:108], v[90:91], v[36:37], v[149:150]
	v_fma_f64 v[90:91], v[92:93], v[56:57], -v[153:154]
	v_add_f64 v[153:154], v[131:132], v[100:101]
	v_mul_f64 v[183:184], v[82:83], s[12:13]
	v_fma_f64 v[68:69], v[151:152], s[6:7], -v[88:89]
	v_add_f64 v[84:85], v[127:128], -v[185:186]
	v_fma_f64 v[141:142], v[86:87], v[48:49], v[143:144]
	v_fma_f64 v[66:67], v[145:146], s[10:11], v[119:120]
	v_add_f64 v[64:65], v[60:61], v[64:65]
	v_add_f64 v[177:178], v[125:126], v[90:91]
	v_add_f64 v[86:87], v[125:126], -v[90:91]
	v_fma_f64 v[70:71], v[153:154], s[10:11], -v[183:184]
	v_add_f64 v[68:69], v[62:63], v[68:69]
	v_mul_f64 v[113:114], v[84:85], s[22:23]
	v_add_f64 v[179:180], v[127:128], v[185:186]
	v_add_f64 v[240:241], v[115:116], -v[107:108]
	v_add_f64 v[64:65], v[66:67], v[64:65]
	v_add_f64 v[175:176], v[109:110], v[135:136]
	v_mul_f64 v[143:144], v[86:87], s[22:23]
	v_add_f64 v[242:243], v[109:110], -v[135:136]
	v_add_f64 v[66:67], v[70:71], v[68:69]
	v_fma_f64 v[68:69], v[177:178], s[18:19], v[113:114]
	v_add_f64 v[181:182], v[115:116], v[107:108]
	v_mul_f64 v[149:150], v[240:241], s[24:25]
	v_add_f64 v[244:245], v[111:112], -v[141:142]
	v_add_f64 v[187:188], v[155:156], v[139:140]
	v_add_f64 v[246:247], v[155:156], -v[139:140]
	v_mul_f64 v[157:158], v[242:243], s[24:25]
	v_add_f64 v[189:190], v[111:112], v[141:142]
	v_add_f64 v[64:65], v[68:69], v[64:65]
	v_fma_f64 v[68:69], v[179:180], s[18:19], -v[143:144]
	v_mul_f64 v[98:99], v[169:170], s[12:13]
	v_mul_f64 v[161:162], v[244:245], s[26:27]
	;; [unrolled: 1-line block ×7, first 2 shown]
	v_add_f64 v[66:67], v[68:69], v[66:67]
	v_fma_f64 v[68:69], v[175:176], s[16:17], v[149:150]
	v_mul_f64 v[117:118], v[86:87], s[34:35]
	v_fma_f64 v[70:71], v[145:146], s[16:17], v[102:103]
	v_mul_f64 v[94:95], v[240:241], s[30:31]
	v_mul_f64 v[123:124], v[242:243], s[30:31]
	v_fma_f64 v[72:73], v[153:154], s[16:17], -v[163:164]
	v_mul_f64 v[191:192], v[244:245], s[28:29]
	v_mul_f64 v[193:194], v[246:247], s[28:29]
	v_add_f64 v[64:65], v[68:69], v[64:65]
	v_fma_f64 v[68:69], v[181:182], s[16:17], -v[157:158]
	v_mul_f64 v[197:198], v[169:170], s[22:23]
	v_mul_f64 v[195:196], v[171:172], s[34:35]
	;; [unrolled: 1-line block ×4, first 2 shown]
	s_mov_b32 s13, 0x3fed1bb4
	v_mul_f64 v[201:202], v[84:85], s[12:13]
	v_mul_f64 v[209:210], v[86:87], s[12:13]
	v_add_f64 v[66:67], v[68:69], v[66:67]
	v_fma_f64 v[68:69], v[187:188], s[20:21], v[161:162]
	v_fma_f64 v[74:75], v[145:146], s[20:21], v[195:196]
	v_mul_f64 v[199:200], v[240:241], s[14:15]
	v_fma_f64 v[76:77], v[153:154], s[20:21], -v[213:214]
	v_mul_f64 v[207:208], v[242:243], s[14:15]
	v_mul_f64 v[203:204], v[244:245], s[24:25]
	;; [unrolled: 1-line block ×4, first 2 shown]
	v_add_f64 v[64:65], v[68:69], v[64:65]
	v_fma_f64 v[68:69], v[189:190], s[20:21], -v[167:168]
	v_mul_f64 v[215:216], v[171:172], s[30:31]
	v_mul_f64 v[225:226], v[80:81], s[24:25]
	;; [unrolled: 1-line block ×7, first 2 shown]
	v_add_f64 v[66:67], v[68:69], v[66:67]
	v_fma_f64 v[68:69], v[147:148], s[10:11], v[98:99]
	v_fma_f64 v[78:79], v[145:146], s[18:19], v[215:216]
	v_fma_f64 v[219:220], v[153:154], s[18:19], -v[227:228]
	v_mul_f64 v[171:172], v[171:172], s[28:29]
	v_mul_f64 v[252:253], v[82:83], s[28:29]
	;; [unrolled: 1-line block ×5, first 2 shown]
	v_add_f64 v[68:69], v[60:61], v[68:69]
	v_fma_f64 v[250:251], v[145:146], s[6:7], -v[171:172]
	v_fma_f64 v[82:83], v[153:154], s[6:7], v[252:253]
	v_fma_f64 v[171:172], v[145:146], s[6:7], v[171:172]
	v_add_f64 v[68:69], v[70:71], v[68:69]
	v_fma_f64 v[70:71], v[151:152], s[10:11], -v[165:166]
	v_add_f64 v[70:71], v[62:63], v[70:71]
	v_add_f64 v[70:71], v[72:73], v[70:71]
	v_fma_f64 v[72:73], v[177:178], s[20:21], v[92:93]
	v_add_f64 v[68:69], v[72:73], v[68:69]
	v_fma_f64 v[72:73], v[179:180], s[20:21], -v[117:118]
	v_add_f64 v[70:71], v[72:73], v[70:71]
	v_fma_f64 v[72:73], v[175:176], s[18:19], v[94:95]
	v_add_f64 v[68:69], v[72:73], v[68:69]
	v_fma_f64 v[72:73], v[181:182], s[18:19], -v[123:124]
	;; [unrolled: 4-line block ×3, first 2 shown]
	v_add_f64 v[70:71], v[72:73], v[70:71]
	v_fma_f64 v[72:73], v[147:148], s[18:19], v[197:198]
	v_add_f64 v[72:73], v[60:61], v[72:73]
	v_add_f64 v[72:73], v[74:75], v[72:73]
	v_fma_f64 v[74:75], v[151:152], s[18:19], -v[211:212]
	v_add_f64 v[74:75], v[62:63], v[74:75]
	v_add_f64 v[74:75], v[76:77], v[74:75]
	v_fma_f64 v[76:77], v[177:178], s[10:11], v[201:202]
	v_add_f64 v[72:73], v[76:77], v[72:73]
	v_fma_f64 v[76:77], v[179:180], s[10:11], -v[209:210]
	v_add_f64 v[74:75], v[76:77], v[74:75]
	v_fma_f64 v[76:77], v[175:176], s[6:7], v[199:200]
	v_add_f64 v[72:73], v[76:77], v[72:73]
	v_fma_f64 v[76:77], v[181:182], s[6:7], -v[207:208]
	v_add_f64 v[74:75], v[76:77], v[74:75]
	v_fma_f64 v[76:77], v[187:188], s[16:17], v[203:204]
	v_add_f64 v[72:73], v[76:77], v[72:73]
	v_fma_f64 v[76:77], v[189:190], s[16:17], -v[205:206]
	v_add_f64 v[74:75], v[76:77], v[74:75]
	v_fma_f64 v[76:77], v[147:148], s[16:17], v[217:218]
	v_add_f64 v[76:77], v[60:61], v[76:77]
	v_add_f64 v[76:77], v[78:79], v[76:77]
	v_fma_f64 v[78:79], v[151:152], s[16:17], -v[225:226]
	v_add_f64 v[78:79], v[62:63], v[78:79]
	v_add_f64 v[78:79], v[219:220], v[78:79]
	v_fma_f64 v[219:220], v[177:178], s[6:7], v[221:222]
	v_add_f64 v[76:77], v[219:220], v[76:77]
	v_fma_f64 v[219:220], v[179:180], s[6:7], -v[231:232]
	v_add_f64 v[78:79], v[219:220], v[78:79]
	v_mul_f64 v[219:220], v[240:241], s[26:27]
	v_mul_f64 v[240:241], v[240:241], s[12:13]
	v_fma_f64 v[223:224], v[175:176], s[20:21], v[219:220]
	v_add_f64 v[76:77], v[223:224], v[76:77]
	v_fma_f64 v[223:224], v[181:182], s[20:21], -v[233:234]
	v_add_f64 v[78:79], v[223:224], v[78:79]
	v_mul_f64 v[223:224], v[244:245], s[12:13]
	v_mul_f64 v[244:245], v[244:245], s[22:23]
	v_fma_f64 v[229:230], v[187:188], s[10:11], v[223:224]
	v_add_f64 v[76:77], v[229:230], v[76:77]
	v_mul_f64 v[229:230], v[246:247], s[12:13]
	v_mul_f64 v[246:247], v[246:247], s[22:23]
	v_fma_f64 v[248:249], v[189:190], s[10:11], -v[229:230]
	v_add_f64 v[78:79], v[248:249], v[78:79]
	v_fma_f64 v[248:249], v[147:148], s[20:21], -v[169:170]
	v_fma_f64 v[169:170], v[147:148], s[20:21], v[169:170]
	v_add_f64 v[248:249], v[60:61], v[248:249]
	v_add_f64 v[169:170], v[60:61], v[169:170]
	v_add_f64 v[248:249], v[250:251], v[248:249]
	v_mul_f64 v[250:251], v[80:81], s[26:27]
	v_add_f64 v[169:170], v[171:172], v[169:170]
	v_fma_f64 v[80:81], v[151:152], s[20:21], v[250:251]
	v_fma_f64 v[171:172], v[151:152], s[20:21], -v[250:251]
	v_add_f64 v[80:81], v[62:63], v[80:81]
	v_add_f64 v[171:172], v[62:63], v[171:172]
	;; [unrolled: 1-line block ×3, first 2 shown]
	v_fma_f64 v[82:83], v[177:178], s[16:17], -v[84:85]
	v_fma_f64 v[84:85], v[177:178], s[16:17], v[84:85]
	v_add_f64 v[82:83], v[82:83], v[248:249]
	v_fma_f64 v[248:249], v[179:180], s[16:17], v[86:87]
	v_add_f64 v[84:85], v[84:85], v[169:170]
	v_fma_f64 v[86:87], v[179:180], s[16:17], -v[86:87]
	v_fma_f64 v[169:170], v[175:176], s[10:11], v[240:241]
	v_add_f64 v[80:81], v[248:249], v[80:81]
	v_fma_f64 v[248:249], v[175:176], s[10:11], -v[240:241]
	v_add_f64 v[84:85], v[169:170], v[84:85]
	v_fma_f64 v[169:170], v[181:182], s[10:11], -v[242:243]
	v_add_f64 v[82:83], v[248:249], v[82:83]
	v_fma_f64 v[248:249], v[181:182], s[10:11], v[242:243]
	v_add_f64 v[248:249], v[248:249], v[80:81]
	v_fma_f64 v[80:81], v[187:188], s[18:19], -v[244:245]
	v_add_f64 v[80:81], v[80:81], v[82:83]
	v_fma_f64 v[82:83], v[189:190], s[18:19], v[246:247]
	v_add_f64 v[82:83], v[82:83], v[248:249]
	v_fma_f64 v[248:249], v[153:154], s[6:7], -v[252:253]
	v_add_f64 v[171:172], v[248:249], v[171:172]
	v_add_f64 v[86:87], v[86:87], v[171:172]
	v_fma_f64 v[171:172], v[189:190], s[18:19], -v[246:247]
	v_add_f64 v[86:87], v[169:170], v[86:87]
	v_fma_f64 v[169:170], v[187:188], s[18:19], v[244:245]
	v_add_f64 v[86:87], v[171:172], v[86:87]
	v_add_f64 v[84:85], v[169:170], v[84:85]
	s_and_saveexec_b64 s[12:13], vcc
	s_cbranch_execz .LBB0_5
; %bb.4:
	v_mul_f64 v[169:170], v[147:148], s[6:7]
	v_mul_f64 v[248:249], v[151:152], s[6:7]
	;; [unrolled: 1-line block ×8, first 2 shown]
	buffer_store_dword v169, off, s[36:39], 0 offset:48 ; 4-byte Folded Spill
	s_nop 0
	buffer_store_dword v170, off, s[36:39], 0 offset:52 ; 4-byte Folded Spill
	v_mul_f64 v[169:170], v[147:148], s[10:11]
	v_mul_f64 v[147:148], v[147:148], s[16:17]
	v_mov_b32_e32 v241, v93
	v_add_f64 v[151:152], v[225:226], v[151:152]
	v_mul_f64 v[225:226], v[179:180], s[18:19]
	v_mov_b32_e32 v240, v92
	v_mov_b32_e32 v92, v96
	;; [unrolled: 1-line block ×3, first 2 shown]
	buffer_store_dword v169, off, s[36:39], 0 offset:56 ; 4-byte Folded Spill
	s_nop 0
	buffer_store_dword v170, off, s[36:39], 0 offset:60 ; 4-byte Folded Spill
	v_mul_f64 v[169:170], v[145:146], s[10:11]
	v_mul_f64 v[96:97], v[177:178], s[18:19]
	v_add_f64 v[151:152], v[62:63], v[151:152]
	v_mov_b32_e32 v172, v120
	v_mul_f64 v[252:253], v[145:146], s[16:17]
	v_mov_b32_e32 v171, v119
	v_mul_f64 v[119:120], v[145:146], s[20:21]
	v_mul_f64 v[145:146], v[145:146], s[18:19]
	buffer_store_dword v169, off, s[36:39], 0 offset:64 ; 4-byte Folded Spill
	s_nop 0
	buffer_store_dword v170, off, s[36:39], 0 offset:68 ; 4-byte Folded Spill
	buffer_store_dword v100, off, s[36:39], 0 offset:16 ; 4-byte Folded Spill
	s_nop 0
	buffer_store_dword v101, off, s[36:39], 0 offset:20 ; 4-byte Folded Spill
	buffer_store_dword v159, off, s[36:39], 0 ; 4-byte Folded Spill
	s_nop 0
	buffer_store_dword v160, off, s[36:39], 0 offset:4 ; 4-byte Folded Spill
	buffer_store_dword v173, off, s[36:39], 0 offset:8 ; 4-byte Folded Spill
	s_nop 0
	buffer_store_dword v174, off, s[36:39], 0 offset:12 ; 4-byte Folded Spill
	buffer_store_dword v121, off, s[36:39], 0 offset:24 ; 4-byte Folded Spill
	s_nop 0
	buffer_store_dword v122, off, s[36:39], 0 offset:28 ; 4-byte Folded Spill
	v_mul_f64 v[121:122], v[153:154], s[20:21]
	v_mul_f64 v[153:154], v[153:154], s[18:19]
	buffer_store_dword v94, off, s[36:39], 0 offset:40 ; 4-byte Folded Spill
	s_nop 0
	buffer_store_dword v95, off, s[36:39], 0 offset:44 ; 4-byte Folded Spill
	v_mov_b32_e32 v94, v183
	v_mov_b32_e32 v95, v184
	;; [unrolled: 1-line block ×9, first 2 shown]
	v_mul_f64 v[139:140], v[179:180], s[20:21]
	v_mov_b32_e32 v159, v143
	v_mul_f64 v[143:144], v[179:180], s[10:11]
	v_mul_f64 v[179:180], v[179:180], s[6:7]
	v_add_f64 v[153:154], v[227:228], v[153:154]
	v_mov_b32_e32 v174, v158
	v_mov_b32_e32 v173, v157
	v_mul_f64 v[157:158], v[181:182], s[20:21]
	v_add_f64 v[147:148], v[147:148], -v[217:218]
	buffer_store_dword v185, off, s[36:39], 0 offset:32 ; 4-byte Folded Spill
	s_nop 0
	buffer_store_dword v186, off, s[36:39], 0 offset:36 ; 4-byte Folded Spill
	buffer_store_dword v96, off, s[36:39], 0 offset:72 ; 4-byte Folded Spill
	s_nop 0
	buffer_store_dword v97, off, s[36:39], 0 offset:76 ; 4-byte Folded Spill
	v_add_f64 v[179:180], v[231:232], v[179:180]
	v_add_f64 v[151:152], v[153:154], v[151:152]
	v_mov_b32_e32 v170, v168
	v_mov_b32_e32 v169, v167
	;; [unrolled: 1-line block ×9, first 2 shown]
	v_mul_f64 v[135:136], v[177:178], s[20:21]
	v_mov_b32_e32 v191, v141
	v_mul_f64 v[141:142], v[177:178], s[10:11]
	v_mul_f64 v[177:178], v[177:178], s[6:7]
	;; [unrolled: 1-line block ×3, first 2 shown]
	v_add_f64 v[157:158], v[233:234], v[157:158]
	v_add_f64 v[145:146], v[145:146], -v[215:216]
	v_add_f64 v[147:148], v[60:61], v[147:148]
	v_add_f64 v[151:152], v[179:180], v[151:152]
	;; [unrolled: 1-line block ×4, first 2 shown]
	v_add_f64 v[177:178], v[177:178], -v[221:222]
	v_add_f64 v[229:230], v[229:230], v[231:232]
	v_add_f64 v[165:166], v[165:166], v[242:243]
	;; [unrolled: 1-line block ×8, first 2 shown]
	v_mov_b32_e32 v100, v161
	v_add_f64 v[133:134], v[62:63], v[165:166]
	v_mov_b32_e32 v101, v162
	v_add_f64 v[177:178], v[177:178], v[145:146]
	v_add_f64 v[145:146], v[229:230], v[147:148]
	;; [unrolled: 1-line block ×4, first 2 shown]
	v_mov_b32_e32 v162, v150
	v_mov_b32_e32 v161, v149
	v_mul_f64 v[149:150], v[181:182], s[16:17]
	v_mul_f64 v[153:154], v[181:182], s[18:19]
	v_mul_f64 v[181:182], v[181:182], s[6:7]
	v_add_f64 v[143:144], v[209:210], v[143:144]
	v_add_f64 v[121:122], v[121:122], v[147:148]
	;; [unrolled: 1-line block ×5, first 2 shown]
	v_mul_f64 v[227:228], v[175:176], s[16:17]
	v_mul_f64 v[185:186], v[175:176], s[18:19]
	v_add_f64 v[137:138], v[207:208], v[181:182]
	v_mul_f64 v[217:218], v[175:176], s[6:7]
	v_add_f64 v[121:122], v[143:144], v[121:122]
	v_add_f64 v[129:130], v[147:148], v[133:134]
	;; [unrolled: 1-line block ×4, first 2 shown]
	v_add_f64 v[133:134], v[141:142], -v[201:202]
	v_add_f64 v[141:142], v[94:95], v[250:251]
	v_mul_f64 v[175:176], v[175:176], s[20:21]
	v_add_f64 v[119:120], v[119:120], -v[195:196]
	v_add_f64 v[121:122], v[137:138], v[121:122]
	v_add_f64 v[125:126], v[139:140], v[129:130]
	;; [unrolled: 1-line block ×3, first 2 shown]
	buffer_load_dword v88, off, s[36:39], 0 offset:48 ; 4-byte Folded Reload
	buffer_load_dword v89, off, s[36:39], 0 offset:52 ; 4-byte Folded Reload
	v_add_f64 v[137:138], v[123:124], v[153:154]
	v_add_f64 v[123:124], v[127:128], v[115:116]
	;; [unrolled: 1-line block ×3, first 2 shown]
	v_add_f64 v[175:176], v[175:176], -v[219:220]
	v_mul_f64 v[179:180], v[187:188], s[20:21]
	v_mul_f64 v[215:216], v[189:190], s[20:21]
	v_add_f64 v[62:63], v[62:63], v[139:140]
	v_mul_f64 v[233:234], v[187:188], s[6:7]
	v_add_f64 v[117:118], v[137:138], v[125:126]
	v_add_f64 v[115:116], v[123:124], v[111:112]
	v_add_f64 v[137:138], v[252:253], -v[102:103]
	v_add_f64 v[175:176], v[175:176], v[177:178]
	v_add_f64 v[177:178], v[244:245], -v[197:198]
	v_mul_f64 v[151:152], v[189:190], s[6:7]
	v_add_f64 v[62:63], v[141:142], v[62:63]
	v_mul_f64 v[211:212], v[187:188], s[10:11]
	v_mul_f64 v[187:188], v[187:188], s[16:17]
	v_add_f64 v[111:112], v[115:116], v[191:192]
	v_mul_f64 v[189:190], v[189:190], s[16:17]
	v_add_f64 v[129:130], v[217:218], -v[199:200]
	v_add_f64 v[163:164], v[60:61], v[177:178]
	v_add_f64 v[157:158], v[211:212], -v[223:224]
	v_add_f64 v[127:128], v[187:188], -v[203:204]
	v_add_f64 v[111:112], v[111:112], v[113:114]
	v_add_f64 v[113:114], v[173:174], v[149:150]
	;; [unrolled: 1-line block ×7, first 2 shown]
	s_waitcnt vmcnt(0)
	v_add_f64 v[123:124], v[88:89], -v[92:93]
	buffer_load_dword v88, off, s[36:39], 0 offset:56 ; 4-byte Folded Reload
	buffer_load_dword v89, off, s[36:39], 0 offset:60 ; 4-byte Folded Reload
	v_add_f64 v[115:116], v[60:61], v[123:124]
	v_add_f64 v[123:124], v[135:136], -v[240:241]
	s_waitcnt vmcnt(0)
	v_add_f64 v[125:126], v[88:89], -v[98:99]
	buffer_load_dword v88, off, s[36:39], 0 offset:64 ; 4-byte Folded Reload
	buffer_load_dword v89, off, s[36:39], 0 offset:68 ; 4-byte Folded Reload
	v_add_f64 v[60:61], v[60:61], v[125:126]
	v_add_f64 v[125:126], v[159:160], v[225:226]
	;; [unrolled: 1-line block ×6, first 2 shown]
	s_waitcnt vmcnt(0)
	v_add_f64 v[109:110], v[88:89], -v[171:172]
	v_add_f64 v[88:89], v[107:108], v[90:91]
	buffer_load_dword v90, off, s[36:39], 0 offset:72 ; 4-byte Folded Reload
	buffer_load_dword v91, off, s[36:39], 0 offset:76 ; 4-byte Folded Reload
	v_add_f64 v[107:108], v[109:110], v[115:116]
	v_add_f64 v[88:89], v[88:89], v[167:168]
	s_waitcnt vmcnt(0)
	v_add_f64 v[94:95], v[90:91], -v[183:184]
	buffer_load_dword v90, off, s[36:39], 0 offset:40 ; 4-byte Folded Reload
	buffer_load_dword v91, off, s[36:39], 0 offset:44 ; 4-byte Folded Reload
	v_add_f64 v[94:95], v[94:95], v[107:108]
	v_add_f64 v[107:108], v[233:234], -v[96:97]
	v_add_f64 v[96:97], v[179:180], -v[100:101]
	s_waitcnt vmcnt(0)
	v_add_f64 v[109:110], v[185:186], -v[90:91]
	buffer_load_dword v90, off, s[36:39], 0 offset:32 ; 4-byte Folded Reload
	buffer_load_dword v91, off, s[36:39], 0 offset:36 ; 4-byte Folded Reload
	;; [unrolled: 1-line block ×4, first 2 shown]
	v_add_f64 v[60:61], v[109:110], v[60:61]
	v_add_f64 v[109:110], v[129:130], v[119:120]
	s_waitcnt vmcnt(2)
	v_add_f64 v[92:93], v[111:112], v[90:91]
	v_add_f64 v[90:91], v[227:228], -v[161:162]
	v_add_f64 v[111:112], v[169:170], v[215:216]
	s_waitcnt vmcnt(0)
	v_add_f64 v[92:93], v[92:93], v[62:63]
	buffer_load_dword v62, off, s[36:39], 0 offset:24 ; 4-byte Folded Reload
	buffer_load_dword v63, off, s[36:39], 0 offset:28 ; 4-byte Folded Reload
	v_add_f64 v[115:116], v[90:91], v[94:95]
	buffer_load_dword v94, off, s[36:39], 0 offset:8 ; 4-byte Folded Reload
	buffer_load_dword v95, off, s[36:39], 0 offset:12 ; 4-byte Folded Reload
	v_add_f64 v[98:99], v[111:112], v[113:114]
	v_add_f64 v[90:91], v[133:134], v[117:118]
	;; [unrolled: 1-line block ×3, first 2 shown]
	s_waitcnt vmcnt(2)
	v_add_f64 v[88:89], v[88:89], v[62:63]
	v_add_f64 v[62:63], v[131:132], v[121:122]
	s_waitcnt vmcnt(0)
	v_add_f64 v[94:95], v[92:93], v[94:95]
	buffer_load_dword v92, off, s[36:39], 0 ; 4-byte Folded Reload
	buffer_load_dword v93, off, s[36:39], 0 offset:4 ; 4-byte Folded Reload
	s_waitcnt vmcnt(0)
	v_add_f64 v[92:93], v[88:89], v[92:93]
	v_add_f64 v[88:89], v[107:108], v[60:61]
	v_add_f64 v[60:61], v[127:128], v[109:110]
	ds_write_b128 v236, v[92:95]
	v_lshl_add_u32 v92, v235, 4, v237
	ds_write_b128 v92, v[96:99] offset:80
	ds_write_b128 v92, v[88:91] offset:160
	;; [unrolled: 1-line block ×10, first 2 shown]
.LBB0_5:
	s_or_b64 exec, exec, s[12:13]
	s_waitcnt lgkmcnt(0)
	s_barrier
	global_load_dwordx4 v[60:63], v[105:106], off offset:880
	s_add_u32 s6, s8, 0x370
	s_addc_u32 s7, s9, 0
	global_load_dwordx4 v[88:91], v238, s[6:7] offset:176
	global_load_dwordx4 v[92:95], v238, s[6:7] offset:352
	;; [unrolled: 1-line block ×4, first 2 shown]
	ds_read_b128 v[105:108], v236
	ds_read_b128 v[109:112], v236 offset:176
	ds_read_b128 v[113:116], v236 offset:352
	;; [unrolled: 1-line block ×4, first 2 shown]
	s_mov_b32 s8, 0x134454ff
	s_mov_b32 s9, 0xbfee6f0e
	;; [unrolled: 1-line block ×10, first 2 shown]
	s_waitcnt vmcnt(3) lgkmcnt(3)
	v_mul_f64 v[127:128], v[111:112], v[90:91]
	v_mul_f64 v[125:126], v[107:108], v[62:63]
	;; [unrolled: 1-line block ×4, first 2 shown]
	s_waitcnt vmcnt(2) lgkmcnt(2)
	v_mul_f64 v[129:130], v[115:116], v[94:95]
	v_mul_f64 v[94:95], v[113:114], v[94:95]
	s_waitcnt vmcnt(1) lgkmcnt(1)
	v_mul_f64 v[131:132], v[119:120], v[98:99]
	v_mul_f64 v[98:99], v[117:118], v[98:99]
	;; [unrolled: 3-line block ×3, first 2 shown]
	v_fma_f64 v[105:106], v[105:106], v[60:61], -v[125:126]
	v_fma_f64 v[107:108], v[107:108], v[60:61], v[62:63]
	v_fma_f64 v[60:61], v[109:110], v[88:89], -v[127:128]
	v_fma_f64 v[62:63], v[111:112], v[88:89], v[90:91]
	;; [unrolled: 2-line block ×5, first 2 shown]
	ds_write_b128 v236, v[105:108]
	ds_write_b128 v236, v[60:63] offset:176
	ds_write_b128 v236, v[88:91] offset:352
	;; [unrolled: 1-line block ×4, first 2 shown]
	s_waitcnt lgkmcnt(0)
	s_barrier
	ds_read_b128 v[60:63], v236
	ds_read_b128 v[88:91], v236 offset:176
	ds_read_b128 v[92:95], v236 offset:352
	;; [unrolled: 1-line block ×4, first 2 shown]
	s_waitcnt lgkmcnt(0)
	v_add_f64 v[105:106], v[60:61], v[88:89]
	v_add_f64 v[113:114], v[88:89], -v[92:93]
	v_add_f64 v[107:108], v[92:93], v[96:97]
	v_add_f64 v[115:116], v[100:101], -v[96:97]
	v_add_f64 v[117:118], v[88:89], v[100:101]
	v_add_f64 v[123:124], v[62:63], v[90:91]
	;; [unrolled: 1-line block ×4, first 2 shown]
	v_add_f64 v[109:110], v[90:91], -v[102:103]
	v_add_f64 v[111:112], v[94:95], -v[98:99]
	;; [unrolled: 1-line block ×9, first 2 shown]
	v_add_f64 v[92:93], v[105:106], v[92:93]
	v_fma_f64 v[105:106], v[107:108], -0.5, v[60:61]
	v_add_f64 v[107:108], v[113:114], v[115:116]
	v_fma_f64 v[60:61], v[117:118], -0.5, v[60:61]
	;; [unrolled: 2-line block ×3, first 2 shown]
	v_fma_f64 v[62:63], v[133:134], -0.5, v[62:63]
	v_add_f64 v[131:132], v[102:103], -v[98:99]
	v_add_f64 v[113:114], v[119:120], v[121:122]
	v_add_f64 v[119:120], v[90:91], v[135:136]
	;; [unrolled: 1-line block ×3, first 2 shown]
	v_fma_f64 v[92:93], v[109:110], s[8:9], v[105:106]
	v_fma_f64 v[96:97], v[109:110], s[14:15], v[105:106]
	;; [unrolled: 1-line block ×4, first 2 shown]
	v_add_f64 v[94:95], v[94:95], v[98:99]
	v_fma_f64 v[98:99], v[88:89], s[14:15], v[115:116]
	v_fma_f64 v[115:116], v[88:89], s[8:9], v[115:116]
	;; [unrolled: 1-line block ×4, first 2 shown]
	v_add_f64 v[117:118], v[129:130], v[131:132]
	v_add_f64 v[60:61], v[90:91], v[100:101]
	v_fma_f64 v[90:91], v[111:112], s[6:7], v[92:93]
	v_fma_f64 v[92:93], v[111:112], s[12:13], v[96:97]
	;; [unrolled: 1-line block ×4, first 2 shown]
	v_add_f64 v[62:63], v[94:95], v[102:103]
	v_fma_f64 v[94:95], v[127:128], s[12:13], v[98:99]
	v_fma_f64 v[98:99], v[88:89], s[12:13], v[123:124]
	;; [unrolled: 1-line block ×12, first 2 shown]
	s_barrier
	ds_write_b128 v239, v[60:63]
	ds_write_b128 v239, v[88:91] offset:16
	ds_write_b128 v239, v[92:95] offset:32
	;; [unrolled: 1-line block ×4, first 2 shown]
	s_waitcnt lgkmcnt(0)
	s_barrier
	s_and_saveexec_b64 s[6:7], vcc
	s_cbranch_execz .LBB0_7
; %bb.6:
	ds_read_b128 v[60:63], v236
	ds_read_b128 v[88:91], v236 offset:80
	ds_read_b128 v[92:95], v236 offset:160
	ds_read_b128 v[96:99], v236 offset:240
	ds_read_b128 v[100:103], v236 offset:320
	ds_read_b128 v[80:83], v236 offset:400
	ds_read_b128 v[84:87], v236 offset:480
	ds_read_b128 v[76:79], v236 offset:560
	ds_read_b128 v[72:75], v236 offset:640
	ds_read_b128 v[68:71], v236 offset:720
	ds_read_b128 v[64:67], v236 offset:800
.LBB0_7:
	s_or_b64 exec, exec, s[6:7]
	s_and_saveexec_b64 s[6:7], vcc
	s_cbranch_execz .LBB0_9
; %bb.8:
	s_waitcnt lgkmcnt(5)
	v_mul_f64 v[105:106], v[54:55], v[82:83]
	s_waitcnt lgkmcnt(4)
	v_mul_f64 v[107:108], v[50:51], v[86:87]
	v_mul_f64 v[111:112], v[50:51], v[84:85]
	;; [unrolled: 1-line block ×3, first 2 shown]
	s_waitcnt lgkmcnt(3)
	v_mul_f64 v[115:116], v[38:39], v[78:79]
	v_mul_f64 v[113:114], v[34:35], v[102:103]
	s_mov_b32 s20, 0xfd768dbf
	s_mov_b32 s21, 0xbfd207e7
	v_fma_f64 v[54:55], v[52:53], v[80:81], v[105:106]
	v_fma_f64 v[50:51], v[48:49], v[84:85], v[107:108]
	v_mul_f64 v[84:85], v[34:35], v[100:101]
	v_mul_f64 v[105:106], v[38:39], v[76:77]
	v_fma_f64 v[38:39], v[48:49], v[86:87], -v[111:112]
	v_mul_f64 v[86:87], v[30:31], v[98:99]
	v_fma_f64 v[52:53], v[52:53], v[82:83], -v[109:110]
	v_fma_f64 v[80:81], v[32:33], v[100:101], v[113:114]
	s_waitcnt lgkmcnt(2)
	v_mul_f64 v[100:101], v[58:59], v[74:75]
	v_mul_f64 v[107:108], v[26:27], v[88:89]
	v_fma_f64 v[82:83], v[32:33], v[102:103], -v[84:85]
	s_waitcnt lgkmcnt(0)
	v_mul_f64 v[109:110], v[46:47], v[64:65]
	v_fma_f64 v[34:35], v[36:37], v[76:77], v[115:116]
	v_fma_f64 v[84:85], v[28:29], v[96:97], v[86:87]
	v_mul_f64 v[86:87], v[30:31], v[96:97]
	v_mul_f64 v[96:97], v[58:59], v[72:73]
	v_fma_f64 v[48:49], v[36:37], v[78:79], -v[105:106]
	v_fma_f64 v[36:37], v[56:57], v[72:73], v[100:101]
	s_mov_b32 s26, 0xf8bb580b
	s_mov_b32 s18, 0x9bcd5057
	;; [unrolled: 1-line block ×4, first 2 shown]
	v_fma_f64 v[58:59], v[28:29], v[98:99], -v[86:87]
	v_fma_f64 v[28:29], v[56:57], v[74:75], -v[96:97]
	v_mul_f64 v[96:97], v[26:27], v[90:91]
	v_mul_f64 v[98:99], v[46:47], v[66:67]
	;; [unrolled: 1-line block ×6, first 2 shown]
	v_add_f64 v[72:73], v[84:85], -v[36:37]
	v_add_f64 v[121:122], v[58:59], -v[28:29]
	v_fma_f64 v[96:97], v[24:25], v[88:89], v[96:97]
	v_fma_f64 v[26:27], v[44:45], v[64:65], v[98:99]
	v_fma_f64 v[98:99], v[24:25], v[90:91], -v[107:108]
	v_fma_f64 v[24:25], v[44:45], v[66:67], -v[109:110]
	v_fma_f64 v[74:75], v[20:21], v[92:93], v[74:75]
	v_fma_f64 v[46:47], v[40:41], v[68:69], v[86:87]
	v_fma_f64 v[94:95], v[20:21], v[94:95], -v[22:23]
	v_fma_f64 v[40:41], v[40:41], v[70:71], -v[42:43]
	s_mov_b32 s14, 0xbb3a28a1
	v_add_f64 v[109:110], v[96:97], -v[26:27]
	v_add_f64 v[117:118], v[96:97], v[26:27]
	v_add_f64 v[111:112], v[98:99], -v[24:25]
	v_add_f64 v[113:114], v[98:99], v[24:25]
	;; [unrolled: 2-line block ×4, first 2 shown]
	v_mul_f64 v[20:21], v[109:110], s[20:21]
	s_mov_b32 s22, 0x8764f0ba
	v_mul_f64 v[42:43], v[111:112], s[20:21]
	s_mov_b32 s15, 0xbfe82f19
	;; [unrolled: 2-line block ×3, first 2 shown]
	v_mul_f64 v[64:65], v[115:116], s[26:27]
	v_add_f64 v[78:79], v[80:81], -v[34:35]
	v_fma_f64 v[44:45], v[113:114], s[18:19], v[20:21]
	v_mul_f64 v[105:106], v[72:73], s[14:15]
	v_fma_f64 v[66:67], v[117:118], s[18:19], -v[42:43]
	v_add_f64 v[56:57], v[58:59], v[28:29]
	v_fma_f64 v[68:69], v[119:120], s[22:23], v[22:23]
	v_add_f64 v[125:126], v[82:83], -v[48:49]
	v_add_f64 v[127:128], v[84:85], v[36:37]
	v_mul_f64 v[70:71], v[121:122], s[14:15]
	v_add_f64 v[44:45], v[62:63], v[44:45]
	v_fma_f64 v[86:87], v[123:124], s[22:23], -v[64:65]
	v_add_f64 v[66:67], v[60:61], v[66:67]
	v_fma_f64 v[20:21], v[113:114], s[18:19], -v[20:21]
	s_mov_b32 s11, 0x3fed1bb4
	s_mov_b32 s10, 0x8eee2c13
	v_mul_f64 v[100:101], v[78:79], s[10:11]
	v_add_f64 v[30:31], v[82:83], v[48:49]
	v_fma_f64 v[88:89], v[56:57], s[16:17], v[105:106]
	v_add_f64 v[44:45], v[68:69], v[44:45]
	v_add_f64 v[129:130], v[52:53], -v[38:39]
	v_add_f64 v[131:132], v[80:81], v[34:35]
	v_mul_f64 v[68:69], v[125:126], s[10:11]
	v_fma_f64 v[90:91], v[127:128], s[16:17], -v[70:71]
	v_add_f64 v[66:67], v[86:87], v[66:67]
	v_fma_f64 v[22:23], v[119:120], s[22:23], -v[22:23]
	v_add_f64 v[20:21], v[62:63], v[20:21]
	s_mov_b32 s8, 0x43842ef
	s_mov_b32 s12, 0xd9c712b6
	;; [unrolled: 1-line block ×4, first 2 shown]
	v_add_f64 v[76:77], v[54:55], -v[50:51]
	v_fma_f64 v[86:87], v[30:31], s[12:13], v[100:101]
	v_add_f64 v[44:45], v[88:89], v[44:45]
	v_add_f64 v[133:134], v[54:55], v[50:51]
	v_mul_f64 v[88:89], v[129:130], s[8:9]
	v_fma_f64 v[92:93], v[131:132], s[12:13], -v[68:69]
	v_add_f64 v[66:67], v[90:91], v[66:67]
	v_fma_f64 v[90:91], v[56:57], s[16:17], -v[105:106]
	v_add_f64 v[20:21], v[22:23], v[20:21]
	s_mov_b32 s24, 0x640f44db
	s_mov_b32 s25, 0xbfc2375f
	v_add_f64 v[32:33], v[52:53], v[38:39]
	v_mul_f64 v[102:103], v[76:77], s[8:9]
	v_add_f64 v[44:45], v[86:87], v[44:45]
	v_fma_f64 v[86:87], v[133:134], s[24:25], -v[88:89]
	v_add_f64 v[66:67], v[92:93], v[66:67]
	v_fma_f64 v[92:93], v[30:31], s[12:13], -v[100:101]
	v_add_f64 v[90:91], v[90:91], v[20:21]
	v_fma_f64 v[42:43], v[117:118], s[18:19], v[42:43]
	s_mov_b32 s30, s8
	v_fma_f64 v[22:23], v[32:33], s[24:25], v[102:103]
	v_fma_f64 v[64:65], v[123:124], s[22:23], v[64:65]
	s_mov_b32 s29, 0xbfe14ced
	v_add_f64 v[20:21], v[86:87], v[66:67]
	v_fma_f64 v[86:87], v[133:134], s[24:25], v[88:89]
	v_add_f64 v[66:67], v[92:93], v[90:91]
	v_mul_f64 v[88:89], v[109:110], s[14:15]
	v_mul_f64 v[90:91], v[111:112], s[14:15]
	v_add_f64 v[22:23], v[22:23], v[44:45]
	v_fma_f64 v[44:45], v[32:33], s[24:25], -v[102:103]
	v_mul_f64 v[92:93], v[107:108], s[30:31]
	v_add_f64 v[42:43], v[60:61], v[42:43]
	v_mul_f64 v[102:103], v[115:116], s[30:31]
	s_mov_b32 s28, s26
	v_fma_f64 v[100:101], v[113:114], s[16:17], v[88:89]
	v_fma_f64 v[105:106], v[117:118], s[16:17], -v[90:91]
	v_fma_f64 v[70:71], v[127:128], s[16:17], v[70:71]
	v_mul_f64 v[135:136], v[72:73], s[28:29]
	v_fma_f64 v[137:138], v[119:120], s[24:25], v[92:93]
	v_add_f64 v[42:43], v[64:65], v[42:43]
	v_fma_f64 v[64:65], v[131:132], s[12:13], v[68:69]
	v_mul_f64 v[68:69], v[121:122], s[28:29]
	v_add_f64 v[100:101], v[62:63], v[100:101]
	v_fma_f64 v[139:140], v[123:124], s[24:25], -v[102:103]
	v_add_f64 v[105:106], v[60:61], v[105:106]
	v_mul_f64 v[141:142], v[78:79], s[20:21]
	v_fma_f64 v[143:144], v[56:57], s[22:23], v[135:136]
	v_add_f64 v[42:43], v[70:71], v[42:43]
	v_fma_f64 v[70:71], v[113:114], s[16:17], -v[88:89]
	v_mul_f64 v[88:89], v[125:126], s[20:21]
	v_add_f64 v[100:101], v[137:138], v[100:101]
	v_fma_f64 v[137:138], v[127:128], s[22:23], -v[68:69]
	v_add_f64 v[105:106], v[139:140], v[105:106]
	v_mul_f64 v[139:140], v[76:77], s[10:11]
	v_fma_f64 v[145:146], v[30:31], s[18:19], v[141:142]
	v_fma_f64 v[92:93], v[119:120], s[24:25], -v[92:93]
	v_add_f64 v[70:71], v[62:63], v[70:71]
	v_fma_f64 v[147:148], v[131:132], s[18:19], -v[88:89]
	v_add_f64 v[100:101], v[143:144], v[100:101]
	v_mul_f64 v[143:144], v[129:130], s[10:11]
	v_add_f64 v[105:106], v[137:138], v[105:106]
	v_fma_f64 v[90:91], v[117:118], s[16:17], v[90:91]
	v_add_f64 v[42:43], v[64:65], v[42:43]
	v_fma_f64 v[64:65], v[32:33], s[12:13], v[139:140]
	;; [unrolled: 2-line block ×3, first 2 shown]
	v_add_f64 v[92:93], v[145:146], v[100:101]
	v_fma_f64 v[100:101], v[133:134], s[12:13], -v[143:144]
	v_add_f64 v[105:106], v[147:148], v[105:106]
	v_add_f64 v[90:91], v[60:61], v[90:91]
	v_fma_f64 v[135:136], v[56:57], s[22:23], -v[135:136]
	v_add_f64 v[44:45], v[44:45], v[66:67]
	v_fma_f64 v[68:69], v[127:128], s[22:23], v[68:69]
	s_mov_b32 s34, s20
	v_add_f64 v[66:67], v[64:65], v[92:93]
	v_mul_f64 v[92:93], v[109:110], s[8:9]
	v_add_f64 v[64:65], v[100:101], v[105:106]
	v_add_f64 v[90:91], v[102:103], v[90:91]
	v_mul_f64 v[100:101], v[111:112], s[8:9]
	v_fma_f64 v[137:138], v[30:31], s[18:19], -v[141:142]
	v_add_f64 v[70:71], v[135:136], v[70:71]
	v_fma_f64 v[88:89], v[131:132], s[18:19], v[88:89]
	v_mul_f64 v[102:103], v[107:108], s[34:35]
	v_fma_f64 v[105:106], v[113:114], s[24:25], v[92:93]
	v_add_f64 v[42:43], v[86:87], v[42:43]
	v_add_f64 v[68:69], v[68:69], v[90:91]
	v_mul_f64 v[90:91], v[115:116], s[34:35]
	v_fma_f64 v[135:136], v[117:118], s[24:25], -v[100:101]
	v_fma_f64 v[86:87], v[32:33], s[12:13], -v[139:140]
	v_add_f64 v[70:71], v[137:138], v[70:71]
	v_mul_f64 v[137:138], v[72:73], s[10:11]
	v_fma_f64 v[139:140], v[119:120], s[18:19], v[102:103]
	v_add_f64 v[105:106], v[62:63], v[105:106]
	v_add_f64 v[68:69], v[88:89], v[68:69]
	v_mul_f64 v[141:142], v[121:122], s[10:11]
	v_fma_f64 v[88:89], v[113:114], s[24:25], -v[92:93]
	v_fma_f64 v[92:93], v[123:124], s[18:19], -v[90:91]
	v_add_f64 v[135:136], v[60:61], v[135:136]
	v_add_f64 v[70:71], v[86:87], v[70:71]
	v_fma_f64 v[86:87], v[133:134], s[12:13], v[143:144]
	v_mul_f64 v[143:144], v[78:79], s[28:29]
	v_fma_f64 v[145:146], v[56:57], s[12:13], v[137:138]
	v_add_f64 v[105:106], v[139:140], v[105:106]
	v_mul_f64 v[139:140], v[125:126], s[28:29]
	v_fma_f64 v[102:103], v[119:120], s[18:19], -v[102:103]
	v_add_f64 v[88:89], v[62:63], v[88:89]
	v_fma_f64 v[147:148], v[127:128], s[12:13], -v[141:142]
	v_add_f64 v[92:93], v[92:93], v[135:136]
	v_mul_f64 v[135:136], v[76:77], s[14:15]
	v_fma_f64 v[149:150], v[30:31], s[22:23], v[143:144]
	v_add_f64 v[105:106], v[145:146], v[105:106]
	v_mul_f64 v[145:146], v[129:130], s[14:15]
	v_fma_f64 v[137:138], v[56:57], s[12:13], -v[137:138]
	v_add_f64 v[88:89], v[102:103], v[88:89]
	v_fma_f64 v[102:103], v[131:132], s[22:23], -v[139:140]
	v_add_f64 v[92:93], v[147:148], v[92:93]
	v_fma_f64 v[100:101], v[117:118], s[24:25], v[100:101]
	v_add_f64 v[68:69], v[86:87], v[68:69]
	v_fma_f64 v[86:87], v[32:33], s[16:17], v[135:136]
	v_add_f64 v[105:106], v[149:150], v[105:106]
	v_fma_f64 v[143:144], v[30:31], s[22:23], -v[143:144]
	v_add_f64 v[88:89], v[137:138], v[88:89]
	v_fma_f64 v[137:138], v[133:134], s[16:17], -v[145:146]
	v_add_f64 v[92:93], v[102:103], v[92:93]
	v_fma_f64 v[90:91], v[123:124], s[18:19], v[90:91]
	v_add_f64 v[100:101], v[60:61], v[100:101]
	s_mov_b32 s11, 0xbfed1bb4
	v_fma_f64 v[102:103], v[32:33], s[16:17], -v[135:136]
	v_mul_f64 v[135:136], v[109:110], s[10:11]
	v_add_f64 v[143:144], v[143:144], v[88:89]
	v_add_f64 v[88:89], v[86:87], v[105:106]
	;; [unrolled: 1-line block ×3, first 2 shown]
	v_fma_f64 v[137:138], v[127:128], s[12:13], v[141:142]
	v_add_f64 v[90:91], v[90:91], v[100:101]
	v_mul_f64 v[105:106], v[111:112], s[10:11]
	v_fma_f64 v[100:101], v[131:132], s[22:23], v[139:140]
	v_mul_f64 v[141:142], v[107:108], s[14:15]
	v_add_f64 v[92:93], v[102:103], v[143:144]
	v_mul_f64 v[102:103], v[115:116], s[14:15]
	v_mul_f64 v[143:144], v[72:73], s[34:35]
	v_add_f64 v[98:99], v[62:63], v[98:99]
	v_add_f64 v[90:91], v[137:138], v[90:91]
	v_fma_f64 v[139:140], v[117:118], s[12:13], -v[105:106]
	v_add_f64 v[96:97], v[60:61], v[96:97]
	v_fma_f64 v[149:150], v[119:120], s[16:17], v[141:142]
	v_fma_f64 v[141:142], v[119:120], s[16:17], -v[141:142]
	v_fma_f64 v[151:152], v[123:124], s[16:17], -v[102:103]
	v_fma_f64 v[147:148], v[113:114], s[12:13], v[135:136]
	v_fma_f64 v[137:138], v[133:134], s[16:17], v[145:146]
	v_add_f64 v[90:91], v[100:101], v[90:91]
	v_fma_f64 v[100:101], v[113:114], s[12:13], -v[135:136]
	v_add_f64 v[139:140], v[60:61], v[139:140]
	v_fma_f64 v[155:156], v[56:57], s[18:19], v[143:144]
	v_fma_f64 v[143:144], v[56:57], s[18:19], -v[143:144]
	v_fma_f64 v[105:106], v[117:118], s[12:13], v[105:106]
	v_mul_f64 v[109:110], v[109:110], s[28:29]
	v_add_f64 v[94:95], v[98:99], v[94:95]
	v_add_f64 v[96:97], v[96:97], v[74:75]
	;; [unrolled: 1-line block ×4, first 2 shown]
	v_mul_f64 v[151:152], v[76:77], s[26:27]
	v_add_f64 v[147:148], v[62:63], v[147:148]
	v_mul_f64 v[145:146], v[121:122], s[34:35]
	v_add_f64 v[90:91], v[137:138], v[90:91]
	v_fma_f64 v[102:103], v[123:124], s[16:17], v[102:103]
	v_add_f64 v[105:106], v[60:61], v[105:106]
	v_add_f64 v[100:101], v[141:142], v[100:101]
	v_mul_f64 v[107:108], v[107:108], s[10:11]
	v_fma_f64 v[137:138], v[32:33], s[22:23], v[151:152]
	v_add_f64 v[58:59], v[94:95], v[58:59]
	v_add_f64 v[84:85], v[96:97], v[84:85]
	v_mul_f64 v[153:154], v[78:79], s[30:31]
	v_add_f64 v[147:148], v[149:150], v[147:148]
	v_fma_f64 v[149:150], v[127:128], s[18:19], -v[145:146]
	v_add_f64 v[100:101], v[143:144], v[100:101]
	v_fma_f64 v[143:144], v[32:33], s[22:23], -v[151:152]
	v_fma_f64 v[151:152], v[113:114], s[22:23], v[109:110]
	v_add_f64 v[102:103], v[102:103], v[105:106]
	v_fma_f64 v[98:99], v[119:120], s[12:13], v[107:108]
	v_add_f64 v[58:59], v[58:59], v[82:83]
	v_add_f64 v[80:81], v[84:85], v[80:81]
	v_mul_f64 v[84:85], v[111:112], s[28:29]
	v_mul_f64 v[135:136], v[125:126], s[30:31]
	v_add_f64 v[139:140], v[149:150], v[139:140]
	v_add_f64 v[105:106], v[62:63], v[151:152]
	v_fma_f64 v[149:150], v[30:31], s[24:25], -v[153:154]
	v_fma_f64 v[145:146], v[127:128], s[18:19], v[145:146]
	v_add_f64 v[52:53], v[58:59], v[52:53]
	v_add_f64 v[54:55], v[80:81], v[54:55]
	v_mul_f64 v[58:59], v[115:116], s[10:11]
	v_fma_f64 v[80:81], v[117:118], s[22:23], v[84:85]
	v_fma_f64 v[159:160], v[131:132], s[24:25], -v[135:136]
	v_add_f64 v[96:97], v[98:99], v[105:106]
	v_fma_f64 v[105:106], v[113:114], s[22:23], -v[109:110]
	v_add_f64 v[100:101], v[149:150], v[100:101]
	v_mul_f64 v[72:73], v[72:73], s[8:9]
	v_fma_f64 v[135:136], v[131:132], s[24:25], v[135:136]
	v_add_f64 v[102:103], v[145:146], v[102:103]
	v_mul_f64 v[109:110], v[121:122], s[8:9]
	v_fma_f64 v[84:85], v[117:118], s[22:23], -v[84:85]
	v_fma_f64 v[107:108], v[119:120], s[12:13], -v[107:108]
	v_add_f64 v[62:63], v[62:63], v[105:106]
	v_add_f64 v[38:39], v[52:53], v[38:39]
	;; [unrolled: 1-line block ×3, first 2 shown]
	v_fma_f64 v[52:53], v[123:124], s[12:13], v[58:59]
	v_add_f64 v[54:55], v[60:61], v[80:81]
	v_add_f64 v[74:75], v[143:144], v[100:101]
	v_mul_f64 v[78:79], v[78:79], s[14:15]
	v_fma_f64 v[94:95], v[56:57], s[24:25], v[72:73]
	v_add_f64 v[100:101], v[135:136], v[102:103]
	v_mul_f64 v[102:103], v[125:126], s[14:15]
	v_fma_f64 v[58:59], v[123:124], s[12:13], -v[58:59]
	v_add_f64 v[60:61], v[60:61], v[84:85]
	v_fma_f64 v[56:57], v[56:57], s[24:25], -v[72:73]
	v_add_f64 v[62:63], v[107:108], v[62:63]
	v_add_f64 v[38:39], v[38:39], v[48:49]
	;; [unrolled: 1-line block ×3, first 2 shown]
	v_fma_f64 v[48:49], v[127:128], s[24:25], v[109:110]
	v_add_f64 v[50:51], v[52:53], v[54:55]
	v_fma_f64 v[157:158], v[30:31], s[24:25], v[153:154]
	v_mul_f64 v[76:77], v[76:77], s[20:21]
	v_fma_f64 v[82:83], v[30:31], s[16:17], v[78:79]
	v_add_f64 v[94:95], v[94:95], v[96:97]
	v_mul_f64 v[96:97], v[129:130], s[20:21]
	v_fma_f64 v[52:53], v[127:128], s[24:25], -v[109:110]
	v_add_f64 v[54:55], v[58:59], v[60:61]
	v_fma_f64 v[30:31], v[30:31], s[16:17], -v[78:79]
	v_add_f64 v[56:57], v[56:57], v[62:63]
	v_add_f64 v[28:29], v[38:39], v[28:29]
	;; [unrolled: 1-line block ×3, first 2 shown]
	v_fma_f64 v[36:37], v[131:132], s[16:17], v[102:103]
	v_add_f64 v[38:39], v[48:49], v[50:51]
	v_add_f64 v[147:148], v[155:156], v[147:148]
	v_mul_f64 v[155:156], v[129:130], s[26:27]
	v_fma_f64 v[48:49], v[131:132], s[16:17], -v[102:103]
	v_add_f64 v[50:51], v[52:53], v[54:55]
	v_fma_f64 v[52:53], v[32:33], s[18:19], -v[76:77]
	v_add_f64 v[30:31], v[30:31], v[56:57]
	v_add_f64 v[28:29], v[28:29], v[40:41]
	v_add_f64 v[34:35], v[34:35], v[46:47]
	v_fma_f64 v[40:41], v[133:134], s[18:19], v[96:97]
	v_add_f64 v[36:37], v[36:37], v[38:39]
	v_fma_f64 v[98:99], v[133:134], s[22:23], v[155:156]
	v_add_f64 v[141:142], v[157:158], v[147:148]
	v_fma_f64 v[147:148], v[133:134], s[22:23], -v[155:156]
	v_add_f64 v[139:140], v[159:160], v[139:140]
	v_fma_f64 v[38:39], v[32:33], s[18:19], v[76:77]
	v_add_f64 v[46:47], v[82:83], v[94:95]
	v_fma_f64 v[54:55], v[133:134], s[18:19], -v[96:97]
	v_add_f64 v[48:49], v[48:49], v[50:51]
	v_add_f64 v[28:29], v[28:29], v[24:25]
	;; [unrolled: 1-line block ×6, first 2 shown]
	v_lshl_add_u32 v24, v235, 4, v237
	v_add_f64 v[36:37], v[137:138], v[141:142]
	v_add_f64 v[34:35], v[147:148], v[139:140]
	;; [unrolled: 1-line block ×4, first 2 shown]
	ds_write_b128 v236, v[26:29]
	ds_write_b128 v24, v[30:33] offset:80
	ds_write_b128 v24, v[72:75] offset:160
	;; [unrolled: 1-line block ×10, first 2 shown]
.LBB0_9:
	s_or_b64 exec, exec, s[6:7]
	s_waitcnt lgkmcnt(0)
	s_barrier
	ds_read_b128 v[20:23], v236
	ds_read_b128 v[24:27], v236 offset:176
	v_mad_u64_u32 v[28:29], s[6:7], s2, v104, 0
	s_waitcnt lgkmcnt(1)
	v_mul_f64 v[30:31], v[18:19], v[22:23]
	v_mul_f64 v[18:19], v[18:19], v[20:21]
	v_mad_u64_u32 v[32:33], s[2:3], s3, v104, v[29:30]
	v_mad_u64_u32 v[33:34], s[2:3], s0, v235, 0
	v_fma_f64 v[20:21], v[16:17], v[20:21], v[30:31]
	v_fma_f64 v[18:19], v[16:17], v[22:23], -v[18:19]
	v_mov_b32_e32 v16, v34
	v_mad_u64_u32 v[22:23], s[2:3], s1, v235, v[16:17]
	s_mov_b32 s2, 0x29e4129e
	s_mov_b32 s3, 0x3f929e41
	v_mov_b32_e32 v34, v22
	s_waitcnt lgkmcnt(0)
	v_mul_f64 v[22:23], v[10:11], v[26:27]
	v_mul_f64 v[10:11], v[10:11], v[24:25]
	v_mov_b32_e32 v29, v32
	v_mul_f64 v[16:17], v[20:21], s[2:3]
	v_mul_f64 v[18:19], v[18:19], s[2:3]
	v_lshlrev_b64 v[20:21], 4, v[28:29]
	v_mov_b32_e32 v28, s5
	v_add_co_u32_e32 v29, vcc, s4, v20
	v_fma_f64 v[22:23], v[8:9], v[24:25], v[22:23]
	v_fma_f64 v[24:25], v[8:9], v[26:27], -v[10:11]
	ds_read_b128 v[8:11], v236 offset:352
	v_addc_co_u32_e32 v28, vcc, v28, v21, vcc
	v_lshlrev_b64 v[20:21], 4, v[33:34]
	s_mulk_i32 s1, 0xb0
	v_add_co_u32_e32 v26, vcc, v29, v20
	v_addc_co_u32_e32 v27, vcc, v28, v21, vcc
	global_store_dwordx4 v[26:27], v[16:19], off
	s_mul_hi_u32 s4, s0, 0xb0
	v_mul_f64 v[16:17], v[22:23], s[2:3]
	ds_read_b128 v[20:23], v236 offset:528
	s_waitcnt lgkmcnt(1)
	v_mul_f64 v[28:29], v[14:15], v[10:11]
	v_mul_f64 v[14:15], v[14:15], v[8:9]
	;; [unrolled: 1-line block ×3, first 2 shown]
	s_add_i32 s1, s4, s1
	s_mulk_i32 s0, 0xb0
	v_mov_b32_e32 v30, s1
	v_add_co_u32_e32 v26, vcc, s0, v26
	v_fma_f64 v[24:25], v[12:13], v[8:9], v[28:29]
	v_fma_f64 v[14:15], v[12:13], v[10:11], -v[14:15]
	ds_read_b128 v[8:11], v236 offset:704
	s_waitcnt lgkmcnt(1)
	v_mul_f64 v[28:29], v[2:3], v[22:23]
	v_mul_f64 v[2:3], v[2:3], v[20:21]
	v_addc_co_u32_e32 v27, vcc, v27, v30, vcc
	s_waitcnt lgkmcnt(0)
	v_mul_f64 v[30:31], v[6:7], v[10:11]
	v_mul_f64 v[6:7], v[6:7], v[8:9]
	global_store_dwordx4 v[26:27], v[16:19], off
	v_mul_f64 v[12:13], v[24:25], s[2:3]
	v_fma_f64 v[16:17], v[0:1], v[20:21], v[28:29]
	v_fma_f64 v[2:3], v[0:1], v[22:23], -v[2:3]
	v_mul_f64 v[14:15], v[14:15], s[2:3]
	v_mov_b32_e32 v18, s1
	v_fma_f64 v[8:9], v[4:5], v[8:9], v[30:31]
	v_fma_f64 v[6:7], v[4:5], v[10:11], -v[6:7]
	v_add_co_u32_e32 v10, vcc, s0, v26
	v_mul_f64 v[0:1], v[16:17], s[2:3]
	v_mul_f64 v[2:3], v[2:3], s[2:3]
	v_addc_co_u32_e32 v11, vcc, v27, v18, vcc
	v_mul_f64 v[4:5], v[8:9], s[2:3]
	v_mul_f64 v[6:7], v[6:7], s[2:3]
	global_store_dwordx4 v[10:11], v[12:15], off
	v_add_co_u32_e32 v8, vcc, s0, v10
	v_mov_b32_e32 v12, s1
	v_addc_co_u32_e32 v9, vcc, v11, v12, vcc
	global_store_dwordx4 v[8:9], v[0:3], off
	s_nop 0
	v_mov_b32_e32 v1, s1
	v_add_co_u32_e32 v0, vcc, s0, v8
	v_addc_co_u32_e32 v1, vcc, v9, v1, vcc
	global_store_dwordx4 v[0:1], v[4:7], off
.LBB0_10:
	s_endpgm
	.section	.rodata,"a",@progbits
	.p2align	6, 0x0
	.amdhsa_kernel bluestein_single_back_len55_dim1_dp_op_CI_CI
		.amdhsa_group_segment_fixed_size 20240
		.amdhsa_private_segment_fixed_size 84
		.amdhsa_kernarg_size 104
		.amdhsa_user_sgpr_count 6
		.amdhsa_user_sgpr_private_segment_buffer 1
		.amdhsa_user_sgpr_dispatch_ptr 0
		.amdhsa_user_sgpr_queue_ptr 0
		.amdhsa_user_sgpr_kernarg_segment_ptr 1
		.amdhsa_user_sgpr_dispatch_id 0
		.amdhsa_user_sgpr_flat_scratch_init 0
		.amdhsa_user_sgpr_private_segment_size 0
		.amdhsa_uses_dynamic_stack 0
		.amdhsa_system_sgpr_private_segment_wavefront_offset 1
		.amdhsa_system_sgpr_workgroup_id_x 1
		.amdhsa_system_sgpr_workgroup_id_y 0
		.amdhsa_system_sgpr_workgroup_id_z 0
		.amdhsa_system_sgpr_workgroup_info 0
		.amdhsa_system_vgpr_workitem_id 0
		.amdhsa_next_free_vgpr 256
		.amdhsa_next_free_sgpr 40
		.amdhsa_reserve_vcc 1
		.amdhsa_reserve_flat_scratch 0
		.amdhsa_float_round_mode_32 0
		.amdhsa_float_round_mode_16_64 0
		.amdhsa_float_denorm_mode_32 3
		.amdhsa_float_denorm_mode_16_64 3
		.amdhsa_dx10_clamp 1
		.amdhsa_ieee_mode 1
		.amdhsa_fp16_overflow 0
		.amdhsa_exception_fp_ieee_invalid_op 0
		.amdhsa_exception_fp_denorm_src 0
		.amdhsa_exception_fp_ieee_div_zero 0
		.amdhsa_exception_fp_ieee_overflow 0
		.amdhsa_exception_fp_ieee_underflow 0
		.amdhsa_exception_fp_ieee_inexact 0
		.amdhsa_exception_int_div_zero 0
	.end_amdhsa_kernel
	.text
.Lfunc_end0:
	.size	bluestein_single_back_len55_dim1_dp_op_CI_CI, .Lfunc_end0-bluestein_single_back_len55_dim1_dp_op_CI_CI
                                        ; -- End function
	.section	.AMDGPU.csdata,"",@progbits
; Kernel info:
; codeLenInByte = 9820
; NumSgprs: 44
; NumVgprs: 256
; ScratchSize: 84
; MemoryBound: 0
; FloatMode: 240
; IeeeMode: 1
; LDSByteSize: 20240 bytes/workgroup (compile time only)
; SGPRBlocks: 5
; VGPRBlocks: 63
; NumSGPRsForWavesPerEU: 44
; NumVGPRsForWavesPerEU: 256
; Occupancy: 1
; WaveLimiterHint : 1
; COMPUTE_PGM_RSRC2:SCRATCH_EN: 1
; COMPUTE_PGM_RSRC2:USER_SGPR: 6
; COMPUTE_PGM_RSRC2:TRAP_HANDLER: 0
; COMPUTE_PGM_RSRC2:TGID_X_EN: 1
; COMPUTE_PGM_RSRC2:TGID_Y_EN: 0
; COMPUTE_PGM_RSRC2:TGID_Z_EN: 0
; COMPUTE_PGM_RSRC2:TIDIG_COMP_CNT: 0
	.type	__hip_cuid_9831b08a4e89d02c,@object ; @__hip_cuid_9831b08a4e89d02c
	.section	.bss,"aw",@nobits
	.globl	__hip_cuid_9831b08a4e89d02c
__hip_cuid_9831b08a4e89d02c:
	.byte	0                               ; 0x0
	.size	__hip_cuid_9831b08a4e89d02c, 1

	.ident	"AMD clang version 19.0.0git (https://github.com/RadeonOpenCompute/llvm-project roc-6.4.0 25133 c7fe45cf4b819c5991fe208aaa96edf142730f1d)"
	.section	".note.GNU-stack","",@progbits
	.addrsig
	.addrsig_sym __hip_cuid_9831b08a4e89d02c
	.amdgpu_metadata
---
amdhsa.kernels:
  - .args:
      - .actual_access:  read_only
        .address_space:  global
        .offset:         0
        .size:           8
        .value_kind:     global_buffer
      - .actual_access:  read_only
        .address_space:  global
        .offset:         8
        .size:           8
        .value_kind:     global_buffer
      - .actual_access:  read_only
        .address_space:  global
        .offset:         16
        .size:           8
        .value_kind:     global_buffer
      - .actual_access:  read_only
        .address_space:  global
        .offset:         24
        .size:           8
        .value_kind:     global_buffer
      - .actual_access:  read_only
        .address_space:  global
        .offset:         32
        .size:           8
        .value_kind:     global_buffer
      - .offset:         40
        .size:           8
        .value_kind:     by_value
      - .address_space:  global
        .offset:         48
        .size:           8
        .value_kind:     global_buffer
      - .address_space:  global
        .offset:         56
        .size:           8
        .value_kind:     global_buffer
      - .address_space:  global
        .offset:         64
        .size:           8
        .value_kind:     global_buffer
      - .address_space:  global
        .offset:         72
        .size:           8
        .value_kind:     global_buffer
      - .offset:         80
        .size:           4
        .value_kind:     by_value
      - .address_space:  global
        .offset:         88
        .size:           8
        .value_kind:     global_buffer
      - .address_space:  global
        .offset:         96
        .size:           8
        .value_kind:     global_buffer
    .group_segment_fixed_size: 20240
    .kernarg_segment_align: 8
    .kernarg_segment_size: 104
    .language:       OpenCL C
    .language_version:
      - 2
      - 0
    .max_flat_workgroup_size: 253
    .name:           bluestein_single_back_len55_dim1_dp_op_CI_CI
    .private_segment_fixed_size: 84
    .sgpr_count:     44
    .sgpr_spill_count: 0
    .symbol:         bluestein_single_back_len55_dim1_dp_op_CI_CI.kd
    .uniform_work_group_size: 1
    .uses_dynamic_stack: false
    .vgpr_count:     256
    .vgpr_spill_count: 20
    .wavefront_size: 64
amdhsa.target:   amdgcn-amd-amdhsa--gfx906
amdhsa.version:
  - 1
  - 2
...

	.end_amdgpu_metadata
